;; amdgpu-corpus repo=ROCm/rocm-examples kind=compiled arch=gfx1100 opt=O3
	.text
	.amdgcn_target "amdgcn-amd-amdhsa--gfx1100"
	.amdhsa_code_object_version 6
	.protected	_Z15sgemm_rocwmma_djjjPKfS0_S0_Pfjjjjff ; -- Begin function _Z15sgemm_rocwmma_djjjPKfS0_S0_Pfjjjjff
	.globl	_Z15sgemm_rocwmma_djjjPKfS0_S0_Pfjjjjff
	.p2align	8
	.type	_Z15sgemm_rocwmma_djjjPKfS0_S0_Pfjjjjff,@function
_Z15sgemm_rocwmma_djjjPKfS0_S0_Pfjjjjff: ; @_Z15sgemm_rocwmma_djjjPKfS0_S0_Pfjjjjff
; %bb.0:
	s_clause 0x1
	s_load_b32 s4, s[0:1], 0x54
	s_load_b64 s[2:3], s[0:1], 0x0
	v_and_b32_e32 v1, 0x3ff, v0
	v_bfe_u32 v0, v0, 10, 10
	s_waitcnt lgkmcnt(0)
	s_and_b32 s5, s4, 0xffff
	s_lshr_b32 s4, s4, 16
	v_mad_u64_u32 v[2:3], null, s14, s5, v[1:2]
	s_mul_i32 s15, s15, s4
	s_delay_alu instid0(SALU_CYCLE_1) | instskip(NEXT) | instid1(VALU_DEP_2)
	v_add_lshl_u32 v0, s15, v0, 4
	v_lshrrev_b32_e32 v2, 1, v2
	s_delay_alu instid0(VALU_DEP_1) | instskip(NEXT) | instid1(VALU_DEP_1)
	v_and_b32_e32 v2, 0x7ffffff0, v2
	v_cmp_gt_u32_e32 vcc_lo, s2, v2
	s_delay_alu instid0(VALU_DEP_4) | instskip(NEXT) | instid1(VALU_DEP_1)
	v_cmp_gt_u32_e64 s2, s3, v0
	s_and_b32 s2, vcc_lo, s2
	s_delay_alu instid0(SALU_CYCLE_1)
	s_and_saveexec_b32 s3, s2
	s_cbranch_execz .LBB0_2
; %bb.1:
	s_load_b128 s[4:7], s[0:1], 0x38
	v_lshrrev_b32_e32 v3, 1, v1
	v_and_b32_e32 v1, 15, v1
	s_load_b128 s[0:3], s[0:1], 0x20
	s_delay_alu instid0(VALU_DEP_2) | instskip(SKIP_1) | instid1(VALU_DEP_2)
	v_and_b32_e32 v17, 8, v3
	s_waitcnt lgkmcnt(0)
	v_mad_u64_u32 v[3:4], null, v2, s4, v[0:1]
	v_mov_b32_e32 v4, 0
	s_delay_alu instid0(VALU_DEP_3) | instskip(NEXT) | instid1(VALU_DEP_2)
	v_mad_u64_u32 v[5:6], null, v17, s4, v[1:2]
	v_mov_b32_e32 v6, v4
	s_delay_alu instid0(VALU_DEP_4) | instskip(NEXT) | instid1(VALU_DEP_3)
	v_lshlrev_b64 v[7:8], 2, v[3:4]
	v_add_nc_u32_e32 v3, s4, v5
	s_delay_alu instid0(VALU_DEP_3) | instskip(NEXT) | instid1(VALU_DEP_3)
	v_lshlrev_b64 v[5:6], 2, v[5:6]
	v_add_co_u32 v18, vcc_lo, s0, v7
	s_delay_alu instid0(VALU_DEP_3) | instskip(SKIP_2) | instid1(VALU_DEP_4)
	v_lshlrev_b64 v[9:10], 2, v[3:4]
	v_add_nc_u32_e32 v3, s4, v3
	v_add_co_ci_u32_e32 v19, vcc_lo, s1, v8, vcc_lo
	v_add_co_u32 v5, vcc_lo, v18, v5
	s_delay_alu instid0(VALU_DEP_3) | instskip(SKIP_1) | instid1(VALU_DEP_4)
	v_lshlrev_b64 v[7:8], 2, v[3:4]
	v_add_nc_u32_e32 v3, s4, v3
	v_add_co_ci_u32_e32 v6, vcc_lo, v19, v6, vcc_lo
	v_add_co_u32 v9, vcc_lo, v18, v9
	s_delay_alu instid0(VALU_DEP_3) | instskip(SKIP_3) | instid1(VALU_DEP_3)
	v_lshlrev_b64 v[11:12], 2, v[3:4]
	v_add_nc_u32_e32 v3, s4, v3
	v_add_co_ci_u32_e32 v10, vcc_lo, v19, v10, vcc_lo
	v_add_co_u32 v7, vcc_lo, v18, v7
	v_lshlrev_b64 v[13:14], 2, v[3:4]
	v_add_nc_u32_e32 v3, s4, v3
	v_add_co_ci_u32_e32 v8, vcc_lo, v19, v8, vcc_lo
	v_add_co_u32 v11, vcc_lo, v18, v11
	s_delay_alu instid0(VALU_DEP_3)
	v_lshlrev_b64 v[15:16], 2, v[3:4]
	v_add_nc_u32_e32 v3, s4, v3
	v_add_co_ci_u32_e32 v12, vcc_lo, v19, v12, vcc_lo
	s_clause 0x3
	global_load_b32 v20, v[5:6], off
	global_load_b32 v21, v[9:10], off
	;; [unrolled: 1-line block ×4, first 2 shown]
	v_add_co_u32 v5, vcc_lo, v18, v13
	v_lshlrev_b64 v[7:8], 2, v[3:4]
	v_add_nc_u32_e32 v3, s4, v3
	v_add_co_ci_u32_e32 v6, vcc_lo, v19, v14, vcc_lo
	v_add_co_u32 v9, vcc_lo, v18, v15
	s_delay_alu instid0(VALU_DEP_3) | instskip(SKIP_3) | instid1(VALU_DEP_4)
	v_lshlrev_b64 v[11:12], 2, v[3:4]
	v_add_co_ci_u32_e32 v10, vcc_lo, v19, v16, vcc_lo
	v_add_co_u32 v7, vcc_lo, v18, v7
	v_add_co_ci_u32_e32 v8, vcc_lo, v19, v8, vcc_lo
	v_add_co_u32 v11, vcc_lo, v18, v11
	v_add_co_ci_u32_e32 v12, vcc_lo, v19, v12, vcc_lo
	s_clause 0x3
	global_load_b32 v18, v[5:6], off
	global_load_b32 v19, v[9:10], off
	;; [unrolled: 1-line block ×4, first 2 shown]
	v_mad_u64_u32 v[5:6], null, v2, s5, v[0:1]
	v_mov_b32_e32 v6, v4
	v_mad_u64_u32 v[2:3], null, v17, s5, v[1:2]
	v_mov_b32_e32 v3, v4
	v_mul_f32_e64 v17, s6, 0
	s_delay_alu instid0(VALU_DEP_4) | instskip(NEXT) | instid1(VALU_DEP_3)
	v_lshlrev_b64 v[0:1], 2, v[5:6]
	v_lshlrev_b64 v[5:6], 2, v[2:3]
	v_add_nc_u32_e32 v3, s5, v2
	s_delay_alu instid0(VALU_DEP_3) | instskip(NEXT) | instid1(VALU_DEP_4)
	v_add_co_u32 v26, vcc_lo, s2, v0
	v_add_co_ci_u32_e32 v27, vcc_lo, s3, v1, vcc_lo
	s_delay_alu instid0(VALU_DEP_3) | instskip(SKIP_1) | instid1(VALU_DEP_4)
	v_lshlrev_b64 v[0:1], 2, v[3:4]
	v_add_nc_u32_e32 v3, s5, v3
	v_add_co_u32 v5, vcc_lo, v26, v5
	s_delay_alu instid0(VALU_DEP_4) | instskip(NEXT) | instid1(VALU_DEP_3)
	v_add_co_ci_u32_e32 v6, vcc_lo, v27, v6, vcc_lo
	v_lshlrev_b64 v[7:8], 2, v[3:4]
	v_add_nc_u32_e32 v3, s5, v3
	v_add_co_u32 v0, vcc_lo, v26, v0
	v_add_co_ci_u32_e32 v1, vcc_lo, v27, v1, vcc_lo
	s_delay_alu instid0(VALU_DEP_3) | instskip(SKIP_3) | instid1(VALU_DEP_3)
	v_lshlrev_b64 v[9:10], 2, v[3:4]
	v_add_nc_u32_e32 v3, s5, v3
	v_add_co_u32 v7, vcc_lo, v26, v7
	v_add_co_ci_u32_e32 v8, vcc_lo, v27, v8, vcc_lo
	v_lshlrev_b64 v[11:12], 2, v[3:4]
	v_add_nc_u32_e32 v3, s5, v3
	v_add_co_u32 v9, vcc_lo, v26, v9
	v_add_co_ci_u32_e32 v10, vcc_lo, v27, v10, vcc_lo
	s_delay_alu instid0(VALU_DEP_3) | instskip(SKIP_3) | instid1(VALU_DEP_4)
	v_lshlrev_b64 v[13:14], 2, v[3:4]
	v_add_nc_u32_e32 v3, s5, v3
	v_add_co_u32 v11, vcc_lo, v26, v11
	v_add_co_ci_u32_e32 v12, vcc_lo, v27, v12, vcc_lo
	v_add_co_u32 v13, vcc_lo, v26, v13
	v_add_co_ci_u32_e32 v14, vcc_lo, v27, v14, vcc_lo
	s_waitcnt vmcnt(7)
	ds_swizzle_b32 v15, v20 offset:50688
	s_waitcnt vmcnt(6)
	ds_swizzle_b32 v2, v21 offset:50688
	s_waitcnt vmcnt(5)
	ds_swizzle_b32 v28, v22 offset:50688
	s_waitcnt vmcnt(4)
	ds_swizzle_b32 v29, v23 offset:50688
	s_waitcnt lgkmcnt(3)
	v_mov_b32_dpp v21, v15 quad_perm:[0,1,2,3] row_mask:0x5 bank_mask:0xf
	s_waitcnt vmcnt(3)
	ds_swizzle_b32 v30, v18 offset:50688
	s_waitcnt vmcnt(2)
	ds_swizzle_b32 v31, v19 offset:50688
	s_waitcnt lgkmcnt(4)
	v_mov_b32_dpp v2, v20 quad_perm:[0,1,2,3] row_mask:0x5 bank_mask:0xf
	s_waitcnt vmcnt(1)
	ds_swizzle_b32 v20, v24 offset:50688
	s_waitcnt vmcnt(0)
	ds_swizzle_b32 v32, v25 offset:50688
	s_waitcnt lgkmcnt(5)
	v_mov_b32_dpp v23, v28 quad_perm:[0,1,2,3] row_mask:0x5 bank_mask:0xf
	s_waitcnt lgkmcnt(4)
	v_mov_b32_dpp v29, v22 quad_perm:[0,1,2,3] row_mask:0x5 bank_mask:0xf
	v_fma_f32 v21, s7, v21, v17
	v_fma_f32 v28, s7, v2, v17
	v_lshlrev_b64 v[15:16], 2, v[3:4]
	v_fma_f32 v22, s7, v23, v17
	v_fma_f32 v29, s7, v29, v17
	ds_swizzle_b32 v33, v21 offset:50688
	ds_swizzle_b32 v23, v28 offset:50688
	v_add_nc_u32_e32 v3, s5, v3
	v_add_co_u32 v15, vcc_lo, v26, v15
	v_add_co_ci_u32_e32 v16, vcc_lo, v27, v16, vcc_lo
	s_delay_alu instid0(VALU_DEP_3)
	v_lshlrev_b64 v[2:3], 2, v[3:4]
	s_waitcnt lgkmcnt(5)
	v_mov_b32_dpp v19, v30 quad_perm:[0,1,2,3] row_mask:0x5 bank_mask:0xf
	s_waitcnt lgkmcnt(4)
	v_mov_b32_dpp v31, v18 quad_perm:[0,1,2,3] row_mask:0x5 bank_mask:0xf
	ds_swizzle_b32 v30, v22 offset:50688
	s_waitcnt lgkmcnt(4)
	v_mov_b32_dpp v20, v25 quad_perm:[0,1,2,3] row_mask:0x5 bank_mask:0xf
	s_waitcnt lgkmcnt(3)
	v_mov_b32_dpp v24, v32 quad_perm:[0,1,2,3] row_mask:0x5 bank_mask:0xf
	v_fma_f32 v18, s7, v19, v17
	v_fma_f32 v25, s7, v31, v17
	ds_swizzle_b32 v19, v29 offset:50688
	v_fma_f32 v20, s7, v20, v17
	v_fmac_f32_e32 v17, s7, v24
	ds_swizzle_b32 v24, v18 offset:50688
	ds_swizzle_b32 v31, v25 offset:50688
	s_waitcnt lgkmcnt(5)
	v_mov_b32_dpp v33, v28 quad_perm:[0,1,2,3] row_mask:0x5 bank_mask:0xf
	ds_swizzle_b32 v34, v20 offset:50688
	ds_swizzle_b32 v32, v17 offset:50688
	s_waitcnt lgkmcnt(6)
	v_mov_b32_dpp v21, v23 quad_perm:[0,1,2,3] row_mask:0x5 bank_mask:0xf
	v_add_co_u32 v2, vcc_lo, v26, v2
	v_add_co_ci_u32_e32 v3, vcc_lo, v27, v3, vcc_lo
	s_clause 0x1
	global_store_b32 v[5:6], v33, off
	global_store_b32 v[0:1], v21, off
	s_waitcnt lgkmcnt(5)
	v_mov_b32_dpp v30, v29 quad_perm:[0,1,2,3] row_mask:0x5 bank_mask:0xf
	s_waitcnt lgkmcnt(4)
	v_mov_b32_dpp v22, v19 quad_perm:[0,1,2,3] row_mask:0x5 bank_mask:0xf
	global_store_b32 v[7:8], v30, off
	s_waitcnt lgkmcnt(3)
	v_mov_b32_dpp v24, v25 quad_perm:[0,1,2,3] row_mask:0x5 bank_mask:0xf
	s_waitcnt lgkmcnt(2)
	v_mov_b32_dpp v18, v31 quad_perm:[0,1,2,3] row_mask:0x5 bank_mask:0xf
	;; [unrolled: 2-line block ×4, first 2 shown]
	s_clause 0x4
	global_store_b32 v[9:10], v22, off
	global_store_b32 v[11:12], v24, off
	;; [unrolled: 1-line block ×5, first 2 shown]
.LBB0_2:
	s_nop 0
	s_sendmsg sendmsg(MSG_DEALLOC_VGPRS)
	s_endpgm
	.section	.rodata,"a",@progbits
	.p2align	6, 0x0
	.amdhsa_kernel _Z15sgemm_rocwmma_djjjPKfS0_S0_Pfjjjjff
		.amdhsa_group_segment_fixed_size 0
		.amdhsa_private_segment_fixed_size 0
		.amdhsa_kernarg_size 328
		.amdhsa_user_sgpr_count 14
		.amdhsa_user_sgpr_dispatch_ptr 0
		.amdhsa_user_sgpr_queue_ptr 0
		.amdhsa_user_sgpr_kernarg_segment_ptr 1
		.amdhsa_user_sgpr_dispatch_id 0
		.amdhsa_user_sgpr_private_segment_size 0
		.amdhsa_wavefront_size32 1
		.amdhsa_uses_dynamic_stack 0
		.amdhsa_enable_private_segment 0
		.amdhsa_system_sgpr_workgroup_id_x 1
		.amdhsa_system_sgpr_workgroup_id_y 1
		.amdhsa_system_sgpr_workgroup_id_z 0
		.amdhsa_system_sgpr_workgroup_info 0
		.amdhsa_system_vgpr_workitem_id 1
		.amdhsa_next_free_vgpr 35
		.amdhsa_next_free_sgpr 16
		.amdhsa_reserve_vcc 1
		.amdhsa_float_round_mode_32 0
		.amdhsa_float_round_mode_16_64 0
		.amdhsa_float_denorm_mode_32 3
		.amdhsa_float_denorm_mode_16_64 3
		.amdhsa_dx10_clamp 1
		.amdhsa_ieee_mode 1
		.amdhsa_fp16_overflow 0
		.amdhsa_workgroup_processor_mode 1
		.amdhsa_memory_ordered 1
		.amdhsa_forward_progress 0
		.amdhsa_shared_vgpr_count 0
		.amdhsa_exception_fp_ieee_invalid_op 0
		.amdhsa_exception_fp_denorm_src 0
		.amdhsa_exception_fp_ieee_div_zero 0
		.amdhsa_exception_fp_ieee_overflow 0
		.amdhsa_exception_fp_ieee_underflow 0
		.amdhsa_exception_fp_ieee_inexact 0
		.amdhsa_exception_int_div_zero 0
	.end_amdhsa_kernel
	.text
.Lfunc_end0:
	.size	_Z15sgemm_rocwmma_djjjPKfS0_S0_Pfjjjjff, .Lfunc_end0-_Z15sgemm_rocwmma_djjjPKfS0_S0_Pfjjjjff
                                        ; -- End function
	.section	.AMDGPU.csdata,"",@progbits
; Kernel info:
; codeLenInByte = 1260
; NumSgprs: 18
; NumVgprs: 35
; ScratchSize: 0
; MemoryBound: 0
; FloatMode: 240
; IeeeMode: 1
; LDSByteSize: 0 bytes/workgroup (compile time only)
; SGPRBlocks: 2
; VGPRBlocks: 4
; NumSGPRsForWavesPerEU: 18
; NumVGPRsForWavesPerEU: 35
; Occupancy: 16
; WaveLimiterHint : 0
; COMPUTE_PGM_RSRC2:SCRATCH_EN: 0
; COMPUTE_PGM_RSRC2:USER_SGPR: 14
; COMPUTE_PGM_RSRC2:TRAP_HANDLER: 0
; COMPUTE_PGM_RSRC2:TGID_X_EN: 1
; COMPUTE_PGM_RSRC2:TGID_Y_EN: 1
; COMPUTE_PGM_RSRC2:TGID_Z_EN: 0
; COMPUTE_PGM_RSRC2:TIDIG_COMP_CNT: 1
	.text
	.p2alignl 7, 3214868480
	.fill 96, 4, 3214868480
	.type	__hip_cuid_8ba6b89c6f654406,@object ; @__hip_cuid_8ba6b89c6f654406
	.section	.bss,"aw",@nobits
	.globl	__hip_cuid_8ba6b89c6f654406
__hip_cuid_8ba6b89c6f654406:
	.byte	0                               ; 0x0
	.size	__hip_cuid_8ba6b89c6f654406, 1

	.ident	"AMD clang version 19.0.0git (https://github.com/RadeonOpenCompute/llvm-project roc-6.4.0 25133 c7fe45cf4b819c5991fe208aaa96edf142730f1d)"
	.section	".note.GNU-stack","",@progbits
	.addrsig
	.addrsig_sym __hip_cuid_8ba6b89c6f654406
	.amdgpu_metadata
---
amdhsa.kernels:
  - .args:
      - .offset:         0
        .size:           4
        .value_kind:     by_value
      - .offset:         4
        .size:           4
        .value_kind:     by_value
      - .offset:         8
        .size:           4
        .value_kind:     by_value
      - .address_space:  global
        .offset:         16
        .size:           8
        .value_kind:     global_buffer
      - .address_space:  global
        .offset:         24
        .size:           8
        .value_kind:     global_buffer
      - .address_space:  global
        .offset:         32
        .size:           8
        .value_kind:     global_buffer
      - .address_space:  global
        .offset:         40
        .size:           8
        .value_kind:     global_buffer
      - .offset:         48
        .size:           4
        .value_kind:     by_value
      - .offset:         52
        .size:           4
        .value_kind:     by_value
      - .offset:         56
        .size:           4
        .value_kind:     by_value
      - .offset:         60
        .size:           4
        .value_kind:     by_value
      - .offset:         64
        .size:           4
        .value_kind:     by_value
      - .offset:         68
        .size:           4
        .value_kind:     by_value
      - .offset:         72
        .size:           4
        .value_kind:     hidden_block_count_x
      - .offset:         76
        .size:           4
        .value_kind:     hidden_block_count_y
      - .offset:         80
        .size:           4
        .value_kind:     hidden_block_count_z
      - .offset:         84
        .size:           2
        .value_kind:     hidden_group_size_x
      - .offset:         86
        .size:           2
        .value_kind:     hidden_group_size_y
      - .offset:         88
        .size:           2
        .value_kind:     hidden_group_size_z
      - .offset:         90
        .size:           2
        .value_kind:     hidden_remainder_x
      - .offset:         92
        .size:           2
        .value_kind:     hidden_remainder_y
      - .offset:         94
        .size:           2
        .value_kind:     hidden_remainder_z
      - .offset:         112
        .size:           8
        .value_kind:     hidden_global_offset_x
      - .offset:         120
        .size:           8
        .value_kind:     hidden_global_offset_y
      - .offset:         128
        .size:           8
        .value_kind:     hidden_global_offset_z
      - .offset:         136
        .size:           2
        .value_kind:     hidden_grid_dims
    .group_segment_fixed_size: 0
    .kernarg_segment_align: 8
    .kernarg_segment_size: 328
    .language:       OpenCL C
    .language_version:
      - 2
      - 0
    .max_flat_workgroup_size: 1024
    .name:           _Z15sgemm_rocwmma_djjjPKfS0_S0_Pfjjjjff
    .private_segment_fixed_size: 0
    .sgpr_count:     18
    .sgpr_spill_count: 0
    .symbol:         _Z15sgemm_rocwmma_djjjPKfS0_S0_Pfjjjjff.kd
    .uniform_work_group_size: 1
    .uses_dynamic_stack: false
    .vgpr_count:     35
    .vgpr_spill_count: 0
    .wavefront_size: 32
    .workgroup_processor_mode: 1
amdhsa.target:   amdgcn-amd-amdhsa--gfx1100
amdhsa.version:
  - 1
  - 2
...

	.end_amdgpu_metadata
